;; amdgpu-corpus repo=ROCm/rocFFT kind=compiled arch=gfx1030 opt=O3
	.text
	.amdgcn_target "amdgcn-amd-amdhsa--gfx1030"
	.amdhsa_code_object_version 6
	.protected	bluestein_single_fwd_len132_dim1_dp_op_CI_CI ; -- Begin function bluestein_single_fwd_len132_dim1_dp_op_CI_CI
	.globl	bluestein_single_fwd_len132_dim1_dp_op_CI_CI
	.p2align	8
	.type	bluestein_single_fwd_len132_dim1_dp_op_CI_CI,@function
bluestein_single_fwd_len132_dim1_dp_op_CI_CI: ; @bluestein_single_fwd_len132_dim1_dp_op_CI_CI
; %bb.0:
	s_load_dwordx4 s[0:3], s[4:5], 0x28
	v_mul_u32_u24_e32 v1, 0xba3, v0
	v_lshrrev_b32_e32 v1, 16, v1
	v_mad_u64_u32 v[76:77], null, s6, 5, v[1:2]
	v_mov_b32_e32 v77, 0
	s_waitcnt lgkmcnt(0)
	v_cmp_gt_u64_e32 vcc_lo, s[0:1], v[76:77]
	s_and_saveexec_b32 s0, vcc_lo
	s_cbranch_execz .LBB0_15
; %bb.1:
	v_mul_hi_u32 v2, 0xcccccccd, v76
	v_mul_lo_u16 v1, v1, 22
	s_clause 0x1
	s_load_dwordx2 s[14:15], s[4:5], 0x0
	s_load_dwordx2 s[12:13], s[4:5], 0x38
	v_sub_nc_u16 v0, v0, v1
	v_lshrrev_b32_e32 v2, 2, v2
	v_and_b32_e32 v188, 0xffff, v0
	v_cmp_gt_u16_e32 vcc_lo, 12, v0
	v_lshl_add_u32 v2, v2, 2, v2
	v_lshlrev_b32_e32 v189, 4, v188
	v_or_b32_e32 v186, 48, v188
	v_sub_nc_u32_e32 v1, v76, v2
	v_or_b32_e32 v185, 0x60, v188
	v_mul_u32_u24_e32 v187, 0x84, v1
	v_lshlrev_b32_e32 v190, 4, v187
	s_and_saveexec_b32 s1, vcc_lo
	s_cbranch_execz .LBB0_3
; %bb.2:
	s_load_dwordx2 s[6:7], s[4:5], 0x18
	s_waitcnt lgkmcnt(0)
	s_load_dwordx4 s[8:11], s[6:7], 0x0
	s_waitcnt lgkmcnt(0)
	v_mad_u64_u32 v[4:5], null, s10, v76, 0
	v_mad_u64_u32 v[6:7], null, s8, v188, 0
	s_mul_i32 s6, s9, 0xc0
	s_mul_hi_u32 s7, s8, 0xc0
	s_mul_i32 s10, s8, 0xc0
	v_mad_u64_u32 v[28:29], null, s8, v186, 0
	v_mov_b32_e32 v0, v5
	v_mov_b32_e32 v1, v7
	v_mad_u64_u32 v[30:31], null, s8, v185, 0
	s_add_i32 s7, s7, s6
	v_mad_u64_u32 v[7:8], null, s11, v76, v[0:1]
	v_mad_u64_u32 v[8:9], null, s9, v188, v[1:2]
	global_load_dwordx4 v[0:3], v189, s[14:15] offset:1536
	v_mov_b32_e32 v5, v7
	v_mov_b32_e32 v7, v8
	v_lshlrev_b64 v[4:5], 4, v[4:5]
	v_lshlrev_b64 v[6:7], 4, v[6:7]
	v_add_co_u32 v36, s0, s2, v4
	v_add_co_ci_u32_e64 v37, s0, s3, v5, s0
	v_mov_b32_e32 v4, v29
	v_add_co_u32 v32, s0, v36, v6
	v_add_co_ci_u32_e64 v33, s0, v37, v7, s0
	v_mov_b32_e32 v5, v31
	v_add_co_u32 v48, s0, v32, s10
	v_add_co_ci_u32_e64 v49, s0, s7, v33, s0
	v_mad_u64_u32 v[20:21], null, s9, v186, v[4:5]
	v_add_co_u32 v52, s0, v48, s10
	v_add_co_ci_u32_e64 v53, s0, s7, v49, s0
	v_mad_u64_u32 v[21:22], null, s9, v185, v[5:6]
	v_add_co_u32 v56, s0, v52, s10
	v_add_co_ci_u32_e64 v57, s0, s7, v53, s0
	v_mov_b32_e32 v29, v20
	s_mul_i32 s2, s9, 0x180
	v_mov_b32_e32 v31, v21
	v_mad_u64_u32 v[60:61], null, 0x180, s8, v[56:57]
	v_lshlrev_b64 v[28:29], 4, v[28:29]
	s_clause 0x1
	global_load_dwordx4 v[4:7], v189, s[14:15]
	global_load_dwordx4 v[8:11], v189, s[14:15] offset:192
	v_lshlrev_b64 v[30:31], 4, v[30:31]
	s_clause 0x3
	global_load_dwordx4 v[12:15], v189, s[14:15] offset:384
	global_load_dwordx4 v[16:19], v189, s[14:15] offset:576
	;; [unrolled: 1-line block ×4, first 2 shown]
	v_add_nc_u32_e32 v61, s2, v61
	v_add_co_u32 v64, s0, v60, s10
	v_add_co_ci_u32_e64 v65, s0, s7, v61, s0
	v_add_co_u32 v34, s0, v36, v28
	v_add_co_ci_u32_e64 v35, s0, v37, v29, s0
	;; [unrolled: 2-line block ×4, first 2 shown]
	v_mad_u64_u32 v[77:78], null, 0x180, s8, v[68:69]
	s_clause 0x2
	global_load_dwordx4 v[28:31], v[32:33], off
	global_load_dwordx4 v[32:35], v[34:35], off
	;; [unrolled: 1-line block ×3, first 2 shown]
	s_clause 0x1
	global_load_dwordx4 v[40:43], v189, s[14:15] offset:1152
	global_load_dwordx4 v[44:47], v189, s[14:15] offset:1344
	s_clause 0x3
	global_load_dwordx4 v[48:51], v[48:49], off
	global_load_dwordx4 v[52:55], v[52:53], off
	;; [unrolled: 1-line block ×5, first 2 shown]
	v_add_nc_u32_e32 v78, s2, v78
	v_add_co_u32 v85, s0, v77, s10
	v_add_co_ci_u32_e64 v86, s0, s7, v78, s0
	global_load_dwordx4 v[68:71], v[68:69], off
	global_load_dwordx4 v[72:75], v189, s[14:15] offset:1728
	global_load_dwordx4 v[77:80], v[77:78], off
	global_load_dwordx4 v[81:84], v189, s[14:15] offset:1920
	global_load_dwordx4 v[85:88], v[85:86], off
	s_waitcnt vmcnt(12)
	v_mul_f64 v[93:94], v[38:39], v[2:3]
	v_mul_f64 v[95:96], v[36:37], v[2:3]
	s_waitcnt vmcnt(9)
	v_mul_f64 v[97:98], v[50:51], v[10:11]
	v_mul_f64 v[89:90], v[30:31], v[6:7]
	;; [unrolled: 1-line block ×4, first 2 shown]
	s_waitcnt vmcnt(8)
	v_mul_f64 v[99:100], v[54:55], v[14:15]
	v_mul_f64 v[14:15], v[52:53], v[14:15]
	s_waitcnt vmcnt(7)
	v_mul_f64 v[101:102], v[58:59], v[18:19]
	v_mul_f64 v[103:104], v[56:57], v[18:19]
	;; [unrolled: 1-line block ×4, first 2 shown]
	s_waitcnt vmcnt(6)
	v_mul_f64 v[105:106], v[62:63], v[26:27]
	v_mul_f64 v[107:108], v[60:61], v[26:27]
	s_waitcnt vmcnt(5)
	v_mul_f64 v[109:110], v[66:67], v[42:43]
	v_mul_f64 v[42:43], v[64:65], v[42:43]
	s_waitcnt vmcnt(4)
	v_mul_f64 v[111:112], v[70:71], v[46:47]
	v_mul_f64 v[46:47], v[68:69], v[46:47]
	s_waitcnt vmcnt(2)
	v_mul_f64 v[113:114], v[79:80], v[74:75]
	v_mul_f64 v[74:75], v[77:78], v[74:75]
	s_waitcnt vmcnt(0)
	v_mul_f64 v[115:116], v[87:88], v[83:84]
	v_mul_f64 v[83:84], v[85:86], v[83:84]
	v_fma_f64 v[26:27], v[36:37], v[0:1], v[93:94]
	v_fma_f64 v[2:3], v[28:29], v[4:5], v[89:90]
	v_fma_f64 v[4:5], v[30:31], v[4:5], -v[6:7]
	v_fma_f64 v[6:7], v[48:49], v[8:9], v[97:98]
	v_fma_f64 v[8:9], v[50:51], v[8:9], -v[10:11]
	;; [unrolled: 2-line block ×8, first 2 shown]
	v_fma_f64 v[28:29], v[38:39], v[0:1], -v[95:96]
	v_fma_f64 v[38:39], v[77:78], v[72:73], v[113:114]
	v_fma_f64 v[40:41], v[79:80], v[72:73], -v[74:75]
	v_fma_f64 v[42:43], v[85:86], v[81:82], v[115:116]
	v_fma_f64 v[44:45], v[87:88], v[81:82], -v[83:84]
	v_lshl_add_u32 v0, v188, 4, v190
	v_add_nc_u32_e32 v1, v190, v189
	ds_write_b128 v0, v[2:5]
	ds_write_b128 v1, v[6:9] offset:192
	ds_write_b128 v1, v[10:13] offset:384
	;; [unrolled: 1-line block ×10, first 2 shown]
.LBB0_3:
	s_or_b32 exec_lo, exec_lo, s1
	s_clause 0x1
	s_load_dwordx2 s[6:7], s[4:5], 0x20
	s_load_dwordx2 s[2:3], s[4:5], 0x8
	s_waitcnt lgkmcnt(0)
	s_barrier
	buffer_gl0_inv
                                        ; implicit-def: $vgpr32_vgpr33
                                        ; implicit-def: $vgpr52_vgpr53
                                        ; implicit-def: $vgpr60_vgpr61
                                        ; implicit-def: $vgpr56_vgpr57
                                        ; implicit-def: $vgpr48_vgpr49
                                        ; implicit-def: $vgpr44_vgpr45
                                        ; implicit-def: $vgpr40_vgpr41
                                        ; implicit-def: $vgpr36_vgpr37
                                        ; implicit-def: $vgpr28_vgpr29
                                        ; implicit-def: $vgpr24_vgpr25
                                        ; implicit-def: $vgpr20_vgpr21
	s_and_saveexec_b32 s0, vcc_lo
	s_cbranch_execz .LBB0_5
; %bb.4:
	v_lshl_add_u32 v0, v187, 4, v189
	ds_read_b128 v[32:35], v0
	ds_read_b128 v[52:55], v0 offset:192
	ds_read_b128 v[60:63], v0 offset:384
	;; [unrolled: 1-line block ×10, first 2 shown]
.LBB0_5:
	s_or_b32 exec_lo, exec_lo, s0
	s_waitcnt lgkmcnt(0)
	v_add_f64 v[0:1], v[54:55], -v[22:23]
	v_add_f64 v[2:3], v[52:53], -v[20:21]
	s_mov_b32 s20, 0xf8bb580b
	s_mov_b32 s21, 0xbfe14ced
	v_add_f64 v[81:82], v[52:53], v[20:21]
	v_add_f64 v[4:5], v[62:63], -v[26:27]
	v_add_f64 v[83:84], v[54:55], v[22:23]
	v_add_f64 v[6:7], v[60:61], -v[24:25]
	s_mov_b32 s4, 0x8764f0ba
	s_mov_b32 s5, 0x3feaeb8c
	s_mov_b32 s19, 0xbfed1bb4
	s_mov_b32 s18, 0x8eee2c13
	v_add_f64 v[64:65], v[60:61], v[24:25]
	v_add_f64 v[66:67], v[62:63], v[26:27]
	v_add_f64 v[8:9], v[58:59], -v[30:31]
	v_add_f64 v[10:11], v[56:57], -v[28:29]
	s_mov_b32 s0, 0xd9c712b6
	s_mov_b32 s22, 0x43842ef
	;; [unrolled: 1-line block ×6, first 2 shown]
	v_mul_f64 v[89:90], v[0:1], s[20:21]
	v_mul_f64 v[91:92], v[2:3], s[20:21]
	s_mov_b32 s25, 0xbfe82f19
	s_mov_b32 s27, 0xbfd207e7
	v_add_f64 v[68:69], v[56:57], v[28:29]
	v_mul_f64 v[85:86], v[4:5], s[18:19]
	v_add_f64 v[70:71], v[58:59], v[30:31]
	v_mul_f64 v[87:88], v[6:7], s[18:19]
	v_mul_f64 v[149:150], v[0:1], s[18:19]
	;; [unrolled: 1-line block ×11, first 2 shown]
	s_mov_b32 s8, 0x640f44db
	s_mov_b32 s10, 0x7f775887
	;; [unrolled: 1-line block ×4, first 2 shown]
	v_fma_f64 v[93:94], v[81:82], s[4:5], v[89:90]
	v_fma_f64 v[95:96], v[83:84], s[4:5], -v[91:92]
	s_mov_b32 s11, 0xbfe4f49e
	s_mov_b32 s17, 0xbfeeb42a
	;; [unrolled: 1-line block ×3, first 2 shown]
	v_fma_f64 v[111:112], v[64:65], s[0:1], v[85:86]
	s_mov_b32 s31, 0x3fefac9e
	v_fma_f64 v[115:116], v[66:67], s[0:1], -v[87:88]
	s_mov_b32 s29, 0x3fe14ced
	s_mov_b32 s34, s26
	;; [unrolled: 1-line block ×4, first 2 shown]
	v_mul_f64 v[113:114], v[4:5], s[24:25]
	v_mul_f64 v[123:124], v[6:7], s[24:25]
	;; [unrolled: 1-line block ×3, first 2 shown]
	v_fma_f64 v[0:1], v[81:82], s[0:1], v[149:150]
	v_fma_f64 v[2:3], v[83:84], s[0:1], -v[155:156]
	v_mul_f64 v[101:102], v[6:7], s[34:35]
	v_fma_f64 v[121:122], v[81:82], s[8:9], v[157:158]
	v_fma_f64 v[125:126], v[83:84], s[8:9], -v[159:160]
	v_fma_f64 v[131:132], v[68:69], s[8:9], v[103:104]
	v_fma_f64 v[133:134], v[70:71], s[8:9], -v[109:110]
	v_add_f64 v[117:118], v[32:33], v[93:94]
	v_add_f64 v[119:120], v[34:35], v[95:96]
	v_mul_f64 v[93:94], v[4:5], s[30:31]
	v_mul_f64 v[95:96], v[6:7], s[30:31]
	v_fma_f64 v[137:138], v[81:82], s[10:11], v[161:162]
	v_fma_f64 v[139:140], v[83:84], s[10:11], -v[163:164]
	v_mul_f64 v[165:166], v[4:5], s[28:29]
	v_mul_f64 v[167:168], v[6:7], s[28:29]
	v_fma_f64 v[4:5], v[81:82], s[16:17], v[171:172]
	v_fma_f64 v[6:7], v[83:84], s[16:17], -v[175:176]
	s_mov_b32 s19, 0x3fed1bb4
	v_add_f64 v[12:13], v[50:51], -v[38:39]
	v_add_f64 v[14:15], v[48:49], -v[36:37]
	v_mul_f64 v[127:128], v[8:9], s[34:35]
	v_mul_f64 v[129:130], v[10:11], s[34:35]
	v_fma_f64 v[143:144], v[64:65], s[10:11], v[113:114]
	v_fma_f64 v[145:146], v[66:67], s[10:11], -v[123:124]
	v_add_f64 v[0:1], v[32:33], v[0:1]
	v_add_f64 v[2:3], v[34:35], v[2:3]
	v_fma_f64 v[151:152], v[64:65], s[16:17], v[97:98]
	v_fma_f64 v[153:154], v[66:67], s[16:17], -v[101:102]
	v_add_f64 v[121:122], v[32:33], v[121:122]
	v_add_f64 v[141:142], v[111:112], v[117:118]
	;; [unrolled: 1-line block ×3, first 2 shown]
	v_mul_f64 v[111:112], v[8:9], s[18:19]
	v_mul_f64 v[117:118], v[10:11], s[18:19]
	v_add_f64 v[125:126], v[34:35], v[125:126]
	v_fma_f64 v[177:178], v[64:65], s[8:9], v[93:94]
	v_fma_f64 v[179:180], v[66:67], s[8:9], -v[95:96]
	v_add_f64 v[137:138], v[32:33], v[137:138]
	v_add_f64 v[139:140], v[34:35], v[139:140]
	v_mul_f64 v[119:120], v[10:11], s[20:21]
	v_add_f64 v[4:5], v[32:33], v[4:5]
	v_add_f64 v[6:7], v[34:35], v[6:7]
	v_fma_f64 v[181:182], v[66:67], s[4:5], -v[167:168]
	v_mul_f64 v[169:170], v[8:9], s[24:25]
	v_mul_f64 v[173:174], v[10:11], s[24:25]
	v_add_f64 v[72:73], v[48:49], v[36:37]
	v_add_f64 v[74:75], v[50:51], v[38:39]
	v_add_f64 v[16:17], v[46:47], -v[42:43]
	v_add_f64 v[18:19], v[44:45], -v[40:41]
	v_mul_f64 v[105:106], v[12:13], s[24:25]
	v_mul_f64 v[107:108], v[14:15], s[24:25]
	v_add_f64 v[0:1], v[143:144], v[0:1]
	v_add_f64 v[195:196], v[131:132], v[141:142]
	;; [unrolled: 1-line block ×3, first 2 shown]
	v_mul_f64 v[115:116], v[8:9], s[20:21]
	v_fma_f64 v[141:142], v[64:65], s[4:5], v[165:166]
	v_add_f64 v[2:3], v[145:146], v[2:3]
	v_fma_f64 v[8:9], v[68:69], s[16:17], v[127:128]
	v_fma_f64 v[10:11], v[70:71], s[16:17], -v[129:130]
	v_mul_f64 v[145:146], v[12:13], s[30:31]
	v_mul_f64 v[147:148], v[14:15], s[30:31]
	v_add_f64 v[143:144], v[151:152], v[121:122]
	v_add_f64 v[199:200], v[153:154], v[125:126]
	v_fma_f64 v[201:202], v[68:69], s[0:1], v[111:112]
	v_fma_f64 v[203:204], v[70:71], s[0:1], -v[117:118]
	v_mul_f64 v[131:132], v[12:13], s[20:21]
	v_mul_f64 v[133:134], v[14:15], s[20:21]
	v_add_f64 v[137:138], v[177:178], v[137:138]
	v_add_f64 v[139:140], v[179:180], v[139:140]
	v_fma_f64 v[205:206], v[70:71], s[4:5], -v[119:120]
	v_mul_f64 v[121:122], v[12:13], s[26:27]
	v_mul_f64 v[125:126], v[14:15], s[26:27]
	v_add_f64 v[6:7], v[181:182], v[6:7]
	v_fma_f64 v[181:182], v[68:69], s[10:11], v[169:170]
	v_fma_f64 v[207:208], v[70:71], s[10:11], -v[173:174]
	v_mul_f64 v[179:180], v[12:13], s[18:19]
	v_fma_f64 v[177:178], v[68:69], s[4:5], v[115:116]
	v_add_f64 v[4:5], v[141:142], v[4:5]
	v_mul_f64 v[183:184], v[14:15], s[18:19]
	v_add_f64 v[77:78], v[44:45], v[40:41]
	v_add_f64 v[79:80], v[46:47], v[42:43]
	v_mul_f64 v[99:100], v[16:17], s[26:27]
	v_mul_f64 v[135:136], v[18:19], s[26:27]
	v_fma_f64 v[191:192], v[72:73], s[10:11], v[105:106]
	v_fma_f64 v[193:194], v[74:75], s[10:11], -v[107:108]
	v_add_f64 v[0:1], v[8:9], v[0:1]
	v_add_f64 v[2:3], v[10:11], v[2:3]
	v_fma_f64 v[8:9], v[72:73], s[8:9], v[145:146]
	v_fma_f64 v[10:11], v[74:75], s[8:9], -v[147:148]
	v_mul_f64 v[151:152], v[16:17], s[28:29]
	v_mul_f64 v[153:154], v[18:19], s[28:29]
	v_add_f64 v[12:13], v[201:202], v[143:144]
	v_add_f64 v[14:15], v[203:204], v[199:200]
	v_fma_f64 v[199:200], v[72:73], s[4:5], v[131:132]
	v_fma_f64 v[201:202], v[74:75], s[4:5], -v[133:134]
	v_mul_f64 v[141:142], v[16:17], s[24:25]
	v_mul_f64 v[143:144], v[18:19], s[24:25]
	;; [unrolled: 6-line block ×4, first 2 shown]
	v_add_f64 v[16:17], v[191:192], v[195:196]
	v_add_f64 v[18:19], v[193:194], v[197:198]
	v_fma_f64 v[191:192], v[77:78], s[16:17], v[99:100]
	v_fma_f64 v[193:194], v[79:80], s[16:17], -v[135:136]
	v_add_f64 v[8:9], v[8:9], v[0:1]
	v_add_f64 v[10:11], v[10:11], v[2:3]
	v_fma_f64 v[195:196], v[77:78], s[4:5], v[151:152]
	v_fma_f64 v[197:198], v[79:80], s[4:5], -v[153:154]
	;; [unrolled: 4-line block ×4, first 2 shown]
	s_barrier
	v_add_f64 v[207:208], v[207:208], v[4:5]
	v_add_f64 v[213:214], v[213:214], v[6:7]
	v_fma_f64 v[215:216], v[77:78], s[8:9], v[177:178]
	v_fma_f64 v[217:218], v[79:80], s[8:9], -v[181:182]
	buffer_gl0_inv
	v_add_f64 v[0:1], v[191:192], v[16:17]
	v_add_f64 v[2:3], v[193:194], v[18:19]
	v_mul_lo_u16 v191, v188, 11
	v_add_f64 v[4:5], v[195:196], v[8:9]
	v_add_f64 v[6:7], v[197:198], v[10:11]
	;; [unrolled: 1-line block ×8, first 2 shown]
	s_and_saveexec_b32 s18, vcc_lo
	s_cbranch_execz .LBB0_7
; %bb.6:
	v_add_f64 v[54:55], v[34:35], v[54:55]
	v_add_f64 v[52:53], v[32:33], v[52:53]
	;; [unrolled: 1-line block ×4, first 2 shown]
	v_mul_f64 v[60:61], v[81:82], s[8:9]
	v_mul_f64 v[62:63], v[81:82], s[10:11]
	v_add_f64 v[54:55], v[54:55], v[58:59]
	v_add_f64 v[52:53], v[52:53], v[56:57]
	v_mul_f64 v[56:57], v[81:82], s[4:5]
	v_mul_f64 v[58:59], v[81:82], s[0:1]
	v_add_f64 v[60:61], v[60:61], -v[157:158]
	v_add_f64 v[62:63], v[62:63], -v[161:162]
	v_add_f64 v[50:51], v[54:55], v[50:51]
	v_add_f64 v[48:49], v[52:53], v[48:49]
	v_mul_f64 v[52:53], v[83:84], s[0:1]
	v_mul_f64 v[54:55], v[83:84], s[4:5]
	v_add_f64 v[56:57], v[56:57], -v[89:90]
	v_add_f64 v[58:59], v[58:59], -v[149:150]
	v_add_f64 v[60:61], v[32:33], v[60:61]
	v_add_f64 v[62:63], v[32:33], v[62:63]
	;; [unrolled: 1-line block ×4, first 2 shown]
	v_mul_f64 v[48:49], v[83:84], s[10:11]
	v_mul_f64 v[50:51], v[83:84], s[8:9]
	v_add_f64 v[52:53], v[155:156], v[52:53]
	v_add_f64 v[54:55], v[91:92], v[54:55]
	;; [unrolled: 1-line block ×6, first 2 shown]
	v_mul_f64 v[44:45], v[83:84], s[16:17]
	v_mul_f64 v[46:47], v[81:82], s[16:17]
	v_add_f64 v[48:49], v[163:164], v[48:49]
	v_add_f64 v[50:51], v[159:160], v[50:51]
	;; [unrolled: 1-line block ×4, first 2 shown]
	v_mul_f64 v[81:82], v[74:75], s[0:1]
	v_mul_f64 v[83:84], v[72:73], s[0:1]
	v_add_f64 v[42:43], v[42:43], v[38:39]
	v_add_f64 v[40:41], v[40:41], v[36:37]
	;; [unrolled: 1-line block ×3, first 2 shown]
	v_add_f64 v[46:47], v[46:47], -v[171:172]
	v_add_f64 v[48:49], v[34:35], v[48:49]
	v_add_f64 v[50:51], v[34:35], v[50:51]
	v_mul_f64 v[36:37], v[70:71], s[10:11]
	v_mul_f64 v[38:39], v[68:69], s[10:11]
	v_add_f64 v[81:82], v[183:184], v[81:82]
	v_add_f64 v[83:84], v[83:84], -v[179:180]
	v_add_f64 v[42:43], v[42:43], v[30:31]
	v_add_f64 v[40:41], v[40:41], v[28:29]
	v_add_f64 v[44:45], v[34:35], v[44:45]
	v_add_f64 v[46:47], v[32:33], v[46:47]
	v_mul_f64 v[32:33], v[66:67], s[4:5]
	v_mul_f64 v[34:35], v[64:65], s[4:5]
	v_add_f64 v[36:37], v[173:174], v[36:37]
	v_add_f64 v[38:39], v[38:39], -v[169:170]
	v_mul_f64 v[28:29], v[66:67], s[10:11]
	v_mul_f64 v[30:31], v[64:65], s[10:11]
	v_add_f64 v[32:33], v[167:168], v[32:33]
	v_add_f64 v[34:35], v[34:35], -v[165:166]
	v_add_f64 v[28:29], v[123:124], v[28:29]
	v_add_f64 v[30:31], v[30:31], -v[113:114]
	v_add_f64 v[32:33], v[32:33], v[44:45]
	v_add_f64 v[34:35], v[34:35], v[46:47]
	v_mul_f64 v[44:45], v[79:80], s[8:9]
	v_mul_f64 v[46:47], v[68:69], s[8:9]
	v_add_f64 v[28:29], v[28:29], v[52:53]
	v_add_f64 v[30:31], v[30:31], v[58:59]
	v_mul_f64 v[52:53], v[79:80], s[4:5]
	v_mul_f64 v[58:59], v[77:78], s[10:11]
	v_add_f64 v[32:33], v[36:37], v[32:33]
	v_add_f64 v[34:35], v[38:39], v[34:35]
	v_mul_f64 v[36:37], v[77:78], s[8:9]
	v_add_f64 v[44:45], v[181:182], v[44:45]
	v_add_f64 v[46:47], v[46:47], -v[103:104]
	v_add_f64 v[52:53], v[153:154], v[52:53]
	v_add_f64 v[58:59], v[58:59], -v[141:142]
	v_add_f64 v[32:33], v[81:82], v[32:33]
	v_add_f64 v[38:39], v[83:84], v[34:35]
	v_add_f64 v[36:37], v[36:37], -v[177:178]
	v_mul_f64 v[81:82], v[74:75], s[10:11]
	v_mul_f64 v[83:84], v[72:73], s[10:11]
	v_add_f64 v[34:35], v[44:45], v[32:33]
	v_mul_f64 v[44:45], v[70:71], s[8:9]
	v_add_f64 v[32:33], v[36:37], v[38:39]
	v_mul_f64 v[36:37], v[66:67], s[0:1]
	v_mul_f64 v[38:39], v[64:65], s[0:1]
	v_add_f64 v[81:82], v[107:108], v[81:82]
	v_add_f64 v[83:84], v[83:84], -v[105:106]
	v_add_f64 v[44:45], v[109:110], v[44:45]
	v_add_f64 v[36:37], v[87:88], v[36:37]
	v_add_f64 v[38:39], v[38:39], -v[85:86]
	v_add_f64 v[36:37], v[36:37], v[54:55]
	v_add_f64 v[38:39], v[38:39], v[56:57]
	v_mul_f64 v[54:55], v[79:80], s[16:17]
	v_mul_f64 v[56:57], v[72:73], s[8:9]
	v_add_f64 v[36:37], v[44:45], v[36:37]
	v_add_f64 v[38:39], v[46:47], v[38:39]
	v_mul_f64 v[44:45], v[77:78], s[16:17]
	v_add_f64 v[54:55], v[135:136], v[54:55]
	v_add_f64 v[56:57], v[56:57], -v[145:146]
	v_add_f64 v[36:37], v[81:82], v[36:37]
	v_add_f64 v[46:47], v[83:84], v[38:39]
	v_add_f64 v[44:45], v[44:45], -v[99:100]
	v_add_f64 v[38:39], v[54:55], v[36:37]
	v_mul_f64 v[54:55], v[74:75], s[8:9]
	v_add_f64 v[36:37], v[44:45], v[46:47]
	v_mul_f64 v[44:45], v[70:71], s[16:17]
	v_mul_f64 v[46:47], v[68:69], s[16:17]
	v_add_f64 v[54:55], v[147:148], v[54:55]
	v_add_f64 v[44:45], v[129:130], v[44:45]
	v_add_f64 v[46:47], v[46:47], -v[127:128]
	v_add_f64 v[28:29], v[44:45], v[28:29]
	v_add_f64 v[30:31], v[46:47], v[30:31]
	v_mul_f64 v[44:45], v[77:78], s[4:5]
	v_add_f64 v[28:29], v[54:55], v[28:29]
	v_add_f64 v[46:47], v[56:57], v[30:31]
	v_add_f64 v[44:45], v[44:45], -v[151:152]
	v_mul_f64 v[54:55], v[72:73], s[4:5]
	v_mul_f64 v[72:73], v[72:73], s[16:17]
	;; [unrolled: 1-line block ×3, first 2 shown]
	v_add_f64 v[30:31], v[52:53], v[28:29]
	v_mul_f64 v[52:53], v[74:75], s[4:5]
	v_add_f64 v[28:29], v[44:45], v[46:47]
	v_add_f64 v[44:45], v[42:43], v[26:27]
	;; [unrolled: 1-line block ×3, first 2 shown]
	v_mul_f64 v[24:25], v[66:67], s[16:17]
	v_mul_f64 v[26:27], v[64:65], s[16:17]
	;; [unrolled: 1-line block ×9, first 2 shown]
	v_add_f64 v[54:55], v[54:55], -v[131:132]
	v_add_f64 v[72:73], v[72:73], -v[121:122]
	v_add_f64 v[56:57], v[143:144], v[56:57]
	v_add_f64 v[52:53], v[133:134], v[52:53]
	;; [unrolled: 1-line block ×5, first 2 shown]
	v_add_f64 v[26:27], v[26:27], -v[97:98]
	v_add_f64 v[66:67], v[95:96], v[66:67]
	v_add_f64 v[64:65], v[64:65], -v[93:94]
	v_add_f64 v[40:41], v[117:118], v[40:41]
	;; [unrolled: 2-line block ×4, first 2 shown]
	v_and_b32_e32 v44, 0xffff, v191
	v_add_lshl_u32 v44, v187, v44, 4
	v_add_f64 v[24:25], v[24:25], v[50:51]
	v_add_f64 v[26:27], v[26:27], v[60:61]
	;; [unrolled: 1-line block ×4, first 2 shown]
	v_mul_f64 v[60:61], v[79:80], s[0:1]
	v_add_f64 v[24:25], v[40:41], v[24:25]
	v_add_f64 v[26:27], v[42:43], v[26:27]
	;; [unrolled: 1-line block ×4, first 2 shown]
	v_mul_f64 v[48:49], v[77:78], s[0:1]
	v_add_f64 v[60:61], v[139:140], v[60:61]
	v_add_f64 v[24:25], v[52:53], v[24:25]
	;; [unrolled: 1-line block ×5, first 2 shown]
	v_add_f64 v[48:49], v[48:49], -v[137:138]
	v_add_f64 v[26:27], v[56:57], v[24:25]
	v_add_f64 v[24:25], v[58:59], v[50:51]
	;; [unrolled: 1-line block ×4, first 2 shown]
	ds_write_b128 v44, v[16:19] offset:96
	ds_write_b128 v44, v[12:15] offset:112
	;; [unrolled: 1-line block ×9, first 2 shown]
	ds_write_b128 v44, v[20:23]
	ds_write_b128 v44, v[0:3] offset:160
.LBB0_7:
	s_or_b32 exec_lo, exec_lo, s18
	v_add_nc_u32_e32 v20, -11, v188
	v_cmp_gt_u16_e64 s0, 11, v188
	s_load_dwordx4 s[4:7], s[6:7], 0x0
	s_waitcnt lgkmcnt(0)
	s_barrier
	buffer_gl0_inv
	v_cndmask_b32_e64 v83, v20, v188, s0
	v_add_lshl_u32 v88, v187, v188, 4
	s_mov_b32 s9, 0xbfebb67a
	v_lshl_add_u32 v87, v188, 4, v190
	v_mul_i32_i24_e32 v20, 0x50, v83
	v_mul_hi_i32_i24_e32 v21, 0x50, v83
	v_add_co_u32 v28, s0, s2, v20
	v_add_co_ci_u32_e64 v29, s0, s3, v21, s0
	s_mov_b32 s0, 0xe8584caa
	s_mov_b32 s1, 0x3febb67a
	s_clause 0x4
	global_load_dwordx4 v[20:23], v[28:29], off offset:32
	global_load_dwordx4 v[36:39], v[28:29], off offset:64
	global_load_dwordx4 v[24:27], v[28:29], off
	global_load_dwordx4 v[32:35], v[28:29], off offset:16
	global_load_dwordx4 v[28:31], v[28:29], off offset:48
	ds_read_b128 v[40:43], v88 offset:1056
	ds_read_b128 v[44:47], v88 offset:1760
	;; [unrolled: 1-line block ×5, first 2 shown]
	s_mov_b32 s8, s0
	s_waitcnt vmcnt(4) lgkmcnt(4)
	v_mul_f64 v[60:61], v[42:43], v[22:23]
	v_mul_f64 v[62:63], v[40:41], v[22:23]
	s_waitcnt vmcnt(3) lgkmcnt(3)
	v_mul_f64 v[64:65], v[44:45], v[38:39]
	v_mul_f64 v[66:67], v[46:47], v[38:39]
	;; [unrolled: 3-line block ×3, first 2 shown]
	v_fma_f64 v[60:61], v[40:41], v[20:21], -v[60:61]
	v_fma_f64 v[62:63], v[42:43], v[20:21], v[62:63]
	v_fma_f64 v[46:47], v[46:47], v[36:37], v[64:65]
	v_fma_f64 v[44:45], v[44:45], v[36:37], -v[66:67]
	s_waitcnt vmcnt(1) lgkmcnt(1)
	v_mul_f64 v[40:41], v[54:55], v[34:35]
	v_mul_f64 v[42:43], v[52:53], v[34:35]
	s_waitcnt vmcnt(0) lgkmcnt(0)
	v_mul_f64 v[64:65], v[58:59], v[30:31]
	v_mul_f64 v[66:67], v[56:57], v[30:31]
	v_fma_f64 v[48:49], v[48:49], v[24:25], -v[68:69]
	v_fma_f64 v[50:51], v[50:51], v[24:25], v[70:71]
	v_add_f64 v[68:69], v[62:63], v[46:47]
	v_add_f64 v[70:71], v[60:61], v[44:45]
	v_fma_f64 v[52:53], v[52:53], v[32:33], -v[40:41]
	v_fma_f64 v[54:55], v[54:55], v[32:33], v[42:43]
	v_fma_f64 v[56:57], v[56:57], v[28:29], -v[64:65]
	v_fma_f64 v[58:59], v[58:59], v[28:29], v[66:67]
	v_add_f64 v[64:65], v[62:63], -v[46:47]
	v_add_f64 v[66:67], v[60:61], -v[44:45]
	ds_read_b128 v[40:43], v88
	s_waitcnt lgkmcnt(0)
	s_barrier
	buffer_gl0_inv
	v_fma_f64 v[68:69], v[68:69], -0.5, v[50:51]
	v_fma_f64 v[70:71], v[70:71], -0.5, v[48:49]
	v_add_f64 v[48:49], v[48:49], v[60:61]
	v_add_f64 v[50:51], v[50:51], v[62:63]
	;; [unrolled: 1-line block ×4, first 2 shown]
	v_fma_f64 v[77:78], v[66:67], s[8:9], v[68:69]
	v_fma_f64 v[79:80], v[64:65], s[8:9], v[70:71]
	;; [unrolled: 1-line block ×4, first 2 shown]
	v_add_f64 v[68:69], v[40:41], v[52:53]
	v_add_f64 v[70:71], v[54:55], -v[58:59]
	v_add_f64 v[54:55], v[42:43], v[54:55]
	v_fma_f64 v[40:41], v[72:73], -0.5, v[40:41]
	v_add_f64 v[52:53], v[52:53], -v[56:57]
	v_fma_f64 v[42:43], v[74:75], -0.5, v[42:43]
	v_add_f64 v[44:45], v[48:49], v[44:45]
	v_add_f64 v[46:47], v[50:51], v[46:47]
	v_mul_f64 v[60:61], v[77:78], s[0:1]
	v_mul_f64 v[62:63], v[79:80], -0.5
	v_mul_f64 v[72:73], v[64:65], s[8:9]
	v_mul_f64 v[74:75], v[66:67], -0.5
	v_add_f64 v[56:57], v[68:69], v[56:57]
	v_add_f64 v[54:55], v[54:55], v[58:59]
	v_fma_f64 v[58:59], v[70:71], s[0:1], v[40:41]
	v_fma_f64 v[68:69], v[70:71], s[8:9], v[40:41]
	;; [unrolled: 1-line block ×4, first 2 shown]
	v_fma_f64 v[60:61], v[64:65], 0.5, v[60:61]
	v_fma_f64 v[62:63], v[66:67], s[0:1], v[62:63]
	v_fma_f64 v[64:65], v[77:78], 0.5, v[72:73]
	v_fma_f64 v[66:67], v[79:80], s[8:9], v[74:75]
	v_add_f64 v[40:41], v[56:57], v[44:45]
	v_add_f64 v[44:45], v[56:57], -v[44:45]
	v_add_f64 v[42:43], v[54:55], v[46:47]
	v_add_f64 v[46:47], v[54:55], -v[46:47]
	v_cmp_lt_u16_e64 s0, 10, v188
	v_add_f64 v[48:49], v[58:59], v[60:61]
	v_add_f64 v[52:53], v[68:69], v[62:63]
	;; [unrolled: 1-line block ×4, first 2 shown]
	v_add_f64 v[56:57], v[58:59], -v[60:61]
	v_add_f64 v[58:59], v[70:71], -v[64:65]
	;; [unrolled: 1-line block ×4, first 2 shown]
	v_cndmask_b32_e64 v64, 0, 0x42, s0
	v_add_nc_u32_e32 v64, v83, v64
	v_add_lshl_u32 v89, v187, v64, 4
	ds_write_b128 v89, v[40:43]
	ds_write_b128 v89, v[44:47] offset:528
	ds_write_b128 v89, v[48:51] offset:176
	;; [unrolled: 1-line block ×5, first 2 shown]
	s_waitcnt lgkmcnt(0)
	s_barrier
	buffer_gl0_inv
	s_clause 0x2
	global_load_dwordx4 v[40:43], v189, s[2:3] offset:880
	global_load_dwordx4 v[44:47], v189, s[2:3] offset:1232
	;; [unrolled: 1-line block ×3, first 2 shown]
	ds_read_b128 v[52:55], v88 offset:1056
	ds_read_b128 v[56:59], v88 offset:1408
	;; [unrolled: 1-line block ×4, first 2 shown]
	ds_read_b128 v[68:71], v88
	ds_read_b128 v[77:80], v88 offset:352
	s_waitcnt vmcnt(2) lgkmcnt(5)
	v_mul_f64 v[72:73], v[54:55], v[42:43]
	v_mul_f64 v[74:75], v[52:53], v[42:43]
	s_waitcnt vmcnt(1) lgkmcnt(4)
	v_mul_f64 v[81:82], v[58:59], v[46:47]
	v_mul_f64 v[83:84], v[56:57], v[46:47]
	;; [unrolled: 3-line block ×3, first 2 shown]
	v_fma_f64 v[52:53], v[52:53], v[40:41], -v[72:73]
	v_fma_f64 v[54:55], v[54:55], v[40:41], v[74:75]
	v_fma_f64 v[56:57], v[56:57], v[44:45], -v[81:82]
	v_fma_f64 v[58:59], v[58:59], v[44:45], v[83:84]
	;; [unrolled: 2-line block ×3, first 2 shown]
	s_waitcnt lgkmcnt(1)
	v_add_f64 v[72:73], v[68:69], -v[52:53]
	v_add_f64 v[74:75], v[70:71], -v[54:55]
	s_waitcnt lgkmcnt(0)
	v_add_f64 v[60:61], v[77:78], -v[56:57]
	v_add_f64 v[62:63], v[79:80], -v[58:59]
	;; [unrolled: 1-line block ×4, first 2 shown]
	v_fma_f64 v[52:53], v[68:69], 2.0, -v[72:73]
	v_fma_f64 v[54:55], v[70:71], 2.0, -v[74:75]
	;; [unrolled: 1-line block ×6, first 2 shown]
	v_add_nc_u32_e32 v77, v189, v190
	ds_write_b128 v87, v[72:75] offset:1056
	ds_write_b128 v87, v[60:63] offset:1408
	ds_write_b128 v87, v[52:55]
	ds_write_b128 v87, v[68:71] offset:352
	ds_write_b128 v87, v[64:67] offset:704
	;; [unrolled: 1-line block ×3, first 2 shown]
	s_waitcnt lgkmcnt(0)
	s_barrier
	buffer_gl0_inv
	s_and_saveexec_b32 s1, vcc_lo
	s_cbranch_execz .LBB0_9
; %bb.8:
	v_add_co_u32 v80, s0, s14, v189
	v_add_co_ci_u32_e64 v81, null, s15, 0, s0
	v_add_co_u32 v78, s0, 0x800, v80
	v_add_co_ci_u32_e64 v79, s0, 0, v81, s0
	v_add_co_u32 v122, s0, 0x840, v80
	v_add_co_ci_u32_e64 v123, s0, 0, v81, s0
	s_clause 0xa
	global_load_dwordx4 v[78:81], v[78:79], off offset:64
	global_load_dwordx4 v[82:85], v[122:123], off offset:192
	;; [unrolled: 1-line block ×11, first 2 shown]
	ds_read_b128 v[126:129], v87
	ds_read_b128 v[130:133], v87 offset:192
	ds_read_b128 v[134:137], v87 offset:384
	;; [unrolled: 1-line block ×10, first 2 shown]
	s_waitcnt vmcnt(10) lgkmcnt(10)
	v_mul_f64 v[170:171], v[128:129], v[80:81]
	v_mul_f64 v[80:81], v[126:127], v[80:81]
	s_waitcnt vmcnt(9) lgkmcnt(9)
	v_mul_f64 v[172:173], v[132:133], v[84:85]
	v_mul_f64 v[84:85], v[130:131], v[84:85]
	;; [unrolled: 3-line block ×11, first 2 shown]
	v_fma_f64 v[124:125], v[126:127], v[78:79], -v[170:171]
	v_fma_f64 v[126:127], v[128:129], v[78:79], v[80:81]
	v_fma_f64 v[78:79], v[130:131], v[82:83], -v[172:173]
	v_fma_f64 v[80:81], v[132:133], v[82:83], v[84:85]
	;; [unrolled: 2-line block ×11, first 2 shown]
	ds_write_b128 v87, v[124:127]
	ds_write_b128 v87, v[78:81] offset:192
	ds_write_b128 v87, v[82:85] offset:384
	;; [unrolled: 1-line block ×10, first 2 shown]
.LBB0_9:
	s_or_b32 exec_lo, exec_lo, s1
	s_waitcnt lgkmcnt(0)
	s_barrier
	buffer_gl0_inv
	s_and_saveexec_b32 s0, vcc_lo
	s_cbranch_execz .LBB0_11
; %bb.10:
	ds_read_b128 v[52:55], v87
	ds_read_b128 v[72:75], v87 offset:192
	ds_read_b128 v[68:71], v87 offset:384
	ds_read_b128 v[60:63], v87 offset:576
	ds_read_b128 v[64:67], v87 offset:768
	ds_read_b128 v[56:59], v87 offset:960
	ds_read_b128 v[16:19], v87 offset:1152
	ds_read_b128 v[12:15], v87 offset:1344
	ds_read_b128 v[8:11], v87 offset:1536
	ds_read_b128 v[4:7], v87 offset:1728
	ds_read_b128 v[0:3], v87 offset:1920
.LBB0_11:
	s_or_b32 exec_lo, exec_lo, s0
	v_add_nc_u32_e32 v90, 0x2c0, v77
	s_waitcnt lgkmcnt(0)
	s_barrier
	buffer_gl0_inv
	s_and_saveexec_b32 s33, vcc_lo
	s_cbranch_execz .LBB0_13
; %bb.12:
	v_add_f64 v[91:92], v[72:73], -v[0:1]
	v_add_f64 v[93:94], v[74:75], -v[2:3]
	s_mov_b32 s16, 0xfd768dbf
	s_mov_b32 s17, 0xbfd207e7
	v_add_f64 v[97:98], v[68:69], -v[4:5]
	v_add_f64 v[99:100], v[74:75], v[2:3]
	v_add_f64 v[101:102], v[70:71], -v[6:7]
	v_add_f64 v[103:104], v[72:73], v[0:1]
	s_mov_b32 s22, 0xbb3a28a1
	s_mov_b32 s18, 0xf8bb580b
	;; [unrolled: 1-line block ×6, first 2 shown]
	v_add_f64 v[109:110], v[60:61], -v[8:9]
	v_add_f64 v[113:114], v[70:71], v[6:7]
	v_add_f64 v[117:118], v[62:63], -v[10:11]
	v_add_f64 v[119:120], v[68:69], v[4:5]
	s_mov_b32 s24, 0x43842ef
	s_mov_b32 s2, 0x8764f0ba
	;; [unrolled: 1-line block ×4, first 2 shown]
	v_mul_f64 v[105:106], v[91:92], s[16:17]
	v_mul_f64 v[107:108], v[93:94], s[16:17]
	;; [unrolled: 1-line block ×3, first 2 shown]
	s_mov_b32 s29, 0x3fefac9e
	v_mul_f64 v[121:122], v[97:98], s[18:19]
	s_mov_b32 s28, s24
	v_mul_f64 v[123:124], v[101:102], s[18:19]
	v_add_f64 v[95:96], v[64:65], -v[12:13]
	v_add_f64 v[111:112], v[62:63], v[10:11]
	v_add_f64 v[129:130], v[66:67], -v[14:15]
	v_add_f64 v[131:132], v[60:61], v[8:9]
	v_mul_f64 v[141:142], v[93:94], s[22:23]
	v_mul_f64 v[159:160], v[91:92], s[24:25]
	;; [unrolled: 1-line block ×6, first 2 shown]
	s_mov_b32 s8, 0x640f44db
	s_mov_b32 s9, 0xbfc2375f
	;; [unrolled: 1-line block ×5, first 2 shown]
	v_fma_f64 v[125:126], v[99:100], s[0:1], v[105:106]
	v_fma_f64 v[127:128], v[103:104], s[0:1], -v[107:108]
	v_fma_f64 v[105:106], v[99:100], s[0:1], -v[105:106]
	v_fma_f64 v[107:108], v[103:104], s[0:1], v[107:108]
	v_fma_f64 v[143:144], v[113:114], s[2:3], v[121:122]
	v_fma_f64 v[121:122], v[113:114], s[2:3], -v[121:122]
	v_fma_f64 v[145:146], v[119:120], s[2:3], -v[123:124]
	v_fma_f64 v[123:124], v[119:120], s[2:3], v[123:124]
	v_fma_f64 v[163:164], v[99:100], s[10:11], v[133:134]
	s_mov_b32 s30, s18
	s_mov_b32 s34, s16
	v_add_f64 v[81:82], v[66:67], v[14:15]
	v_add_f64 v[115:116], v[58:59], -v[18:19]
	v_add_f64 v[85:86], v[64:65], v[12:13]
	v_add_f64 v[74:75], v[54:55], v[74:75]
	;; [unrolled: 1-line block ×3, first 2 shown]
	v_mul_f64 v[147:148], v[95:96], s[26:27]
	v_mul_f64 v[151:152], v[129:130], s[26:27]
	;; [unrolled: 1-line block ×4, first 2 shown]
	v_fma_f64 v[171:172], v[111:112], s[10:11], v[137:138]
	v_fma_f64 v[173:174], v[131:132], s[10:11], -v[139:140]
	v_add_f64 v[125:126], v[54:55], v[125:126]
	v_add_f64 v[127:128], v[52:53], v[127:128]
	;; [unrolled: 1-line block ×4, first 2 shown]
	v_fma_f64 v[137:138], v[111:112], s[10:11], -v[137:138]
	v_fma_f64 v[175:176], v[103:104], s[10:11], -v[141:142]
	;; [unrolled: 1-line block ×3, first 2 shown]
	v_fma_f64 v[139:140], v[131:132], s[10:11], v[139:140]
	v_fma_f64 v[141:142], v[103:104], s[10:11], v[141:142]
	v_mul_f64 v[177:178], v[101:102], s[34:35]
	v_fma_f64 v[179:180], v[99:100], s[8:9], v[159:160]
	v_fma_f64 v[181:182], v[113:114], s[8:9], v[161:162]
	v_add_f64 v[163:164], v[54:55], v[163:164]
	v_fma_f64 v[194:195], v[103:104], s[8:9], -v[169:170]
	s_mov_b32 s20, 0xd9c712b6
	s_mov_b32 s21, 0x3fda9628
	v_add_f64 v[79:80], v[56:57], v[16:17]
	v_mul_f64 v[149:150], v[115:116], s[24:25]
	v_fma_f64 v[183:184], v[81:82], s[20:21], v[147:148]
	v_fma_f64 v[192:193], v[85:86], s[20:21], -v[151:152]
	v_fma_f64 v[147:148], v[81:82], s[20:21], -v[147:148]
	;; [unrolled: 1-line block ×3, first 2 shown]
	v_add_f64 v[125:126], v[143:144], v[125:126]
	v_add_f64 v[127:128], v[145:146], v[127:128]
	;; [unrolled: 1-line block ×4, first 2 shown]
	v_mul_f64 v[123:124], v[97:98], s[34:35]
	v_mul_f64 v[143:144], v[109:110], s[26:27]
	;; [unrolled: 1-line block ×3, first 2 shown]
	v_fma_f64 v[161:162], v[113:114], s[8:9], -v[161:162]
	v_add_f64 v[133:134], v[54:55], v[133:134]
	v_add_f64 v[70:71], v[74:75], v[70:71]
	v_fma_f64 v[74:75], v[85:86], s[20:21], v[151:152]
	v_add_f64 v[141:142], v[52:53], v[141:142]
	v_add_f64 v[68:69], v[72:73], v[68:69]
	;; [unrolled: 1-line block ×5, first 2 shown]
	v_add_f64 v[83:84], v[56:57], -v[16:17]
	v_mul_f64 v[155:156], v[95:96], s[16:17]
	v_mul_f64 v[165:166], v[129:130], s[16:17]
	v_add_f64 v[77:78], v[58:59], v[18:19]
	v_mul_f64 v[121:122], v[117:118], s[30:31]
	v_add_f64 v[175:176], v[52:53], v[175:176]
	v_add_f64 v[125:126], v[171:172], v[125:126]
	;; [unrolled: 1-line block ×4, first 2 shown]
	v_fma_f64 v[137:138], v[119:120], s[8:9], v[167:168]
	v_add_f64 v[107:108], v[139:140], v[107:108]
	v_fma_f64 v[139:140], v[113:114], s[0:1], v[123:124]
	v_fma_f64 v[167:168], v[111:112], s[2:3], v[157:158]
	v_fma_f64 v[173:174], v[119:120], s[0:1], -v[177:178]
	v_fma_f64 v[171:172], v[79:80], s[8:9], -v[149:150]
	v_fma_f64 v[157:158], v[111:112], s[2:3], -v[157:158]
	v_add_f64 v[133:134], v[161:162], v[133:134]
	v_add_f64 v[62:63], v[70:71], v[62:63]
	;; [unrolled: 1-line block ×3, first 2 shown]
	v_fma_f64 v[123:124], v[113:114], s[0:1], -v[123:124]
	v_mul_f64 v[153:154], v[83:84], s[26:27]
	v_fma_f64 v[68:69], v[81:82], s[0:1], -v[155:156]
	v_mul_f64 v[135:136], v[83:84], s[24:25]
	v_fma_f64 v[181:182], v[131:132], s[2:3], -v[121:122]
	v_fma_f64 v[121:122], v[131:132], s[2:3], v[121:122]
	v_add_f64 v[125:126], v[183:184], v[125:126]
	v_fma_f64 v[183:184], v[85:86], s[0:1], -v[165:166]
	v_add_f64 v[105:106], v[147:148], v[105:106]
	v_fma_f64 v[147:148], v[79:80], s[8:9], v[149:150]
	v_fma_f64 v[149:150], v[99:100], s[8:9], -v[159:160]
	v_add_f64 v[137:138], v[137:138], v[141:142]
	v_fma_f64 v[141:142], v[103:104], s[8:9], v[169:170]
	v_fma_f64 v[159:160], v[111:112], s[20:21], v[143:144]
	v_add_f64 v[139:140], v[139:140], v[151:152]
	v_add_f64 v[161:162], v[167:168], v[163:164]
	v_mul_f64 v[167:168], v[129:130], s[30:31]
	v_fma_f64 v[169:170], v[131:132], s[20:21], -v[145:146]
	v_add_f64 v[173:174], v[173:174], v[179:180]
	v_mul_f64 v[179:180], v[115:116], s[26:27]
	s_mov_b32 s27, 0xbfed1bb4
	v_fma_f64 v[151:152], v[81:82], s[0:1], v[155:156]
	v_add_f64 v[70:71], v[157:158], v[133:134]
	v_fma_f64 v[133:134], v[85:86], s[0:1], v[165:166]
	v_fma_f64 v[155:156], v[119:120], s[0:1], v[177:178]
	v_add_f64 v[62:63], v[62:63], v[66:67]
	v_add_f64 v[60:61], v[60:61], v[64:65]
	v_mul_f64 v[64:65], v[93:94], s[30:31]
	v_mul_f64 v[66:67], v[93:94], s[26:27]
	v_fma_f64 v[163:164], v[77:78], s[20:21], v[153:154]
	v_fma_f64 v[93:94], v[77:78], s[20:21], -v[153:154]
	v_fma_f64 v[145:146], v[131:132], s[20:21], v[145:146]
	v_add_f64 v[149:150], v[54:55], v[149:150]
	v_fma_f64 v[143:144], v[111:112], s[20:21], -v[143:144]
	v_add_f64 v[141:142], v[52:53], v[141:142]
	v_add_f64 v[74:75], v[74:75], v[107:108]
	;; [unrolled: 1-line block ×3, first 2 shown]
	v_mul_f64 v[159:160], v[91:92], s[26:27]
	v_fma_f64 v[165:166], v[85:86], s[2:3], -v[167:168]
	v_mul_f64 v[91:92], v[91:92], s[30:31]
	v_add_f64 v[169:170], v[169:170], v[173:174]
	v_fma_f64 v[173:174], v[79:80], s[20:21], -v[179:180]
	v_mul_f64 v[107:108], v[95:96], s[30:31]
	v_add_f64 v[175:176], v[196:197], v[175:176]
	v_add_f64 v[68:69], v[68:69], v[70:71]
	v_fma_f64 v[70:71], v[79:80], s[20:21], v[179:180]
	v_add_f64 v[121:122], v[121:122], v[137:138]
	v_add_f64 v[58:59], v[62:63], v[58:59]
	;; [unrolled: 1-line block ×3, first 2 shown]
	v_fma_f64 v[60:61], v[103:104], s[2:3], v[64:65]
	v_fma_f64 v[62:63], v[103:104], s[20:21], v[66:67]
	v_fma_f64 v[66:67], v[103:104], s[20:21], -v[66:67]
	v_fma_f64 v[64:65], v[103:104], s[2:3], -v[64:65]
	v_mul_f64 v[103:104], v[109:110], s[34:35]
	v_add_f64 v[123:124], v[123:124], v[149:150]
	v_mul_f64 v[149:150], v[97:98], s[22:23]
	v_add_f64 v[141:142], v[155:156], v[141:142]
	v_mul_f64 v[97:98], v[97:98], s[26:27]
	v_mul_f64 v[155:156], v[101:102], s[22:23]
	v_fma_f64 v[153:154], v[99:100], s[20:21], -v[159:160]
	v_mul_f64 v[101:102], v[101:102], s[26:27]
	v_fma_f64 v[159:160], v[99:100], s[20:21], v[159:160]
	v_add_f64 v[165:166], v[165:166], v[169:170]
	v_fma_f64 v[169:170], v[99:100], s[2:3], -v[91:92]
	v_fma_f64 v[91:92], v[99:100], s[2:3], v[91:92]
	v_mul_f64 v[109:110], v[109:110], s[24:25]
	v_fma_f64 v[157:158], v[81:82], s[2:3], v[107:108]
	v_fma_f64 v[107:108], v[81:82], s[2:3], -v[107:108]
	v_mul_f64 v[137:138], v[83:84], s[22:23]
	v_add_f64 v[18:19], v[58:59], v[18:19]
	v_add_f64 v[16:17], v[56:57], v[16:17]
	;; [unrolled: 1-line block ×6, first 2 shown]
	v_mul_f64 v[64:65], v[95:96], s[28:29]
	v_add_f64 v[123:124], v[143:144], v[123:124]
	v_fma_f64 v[143:144], v[85:86], s[2:3], v[167:168]
	v_add_f64 v[99:100], v[145:146], v[141:142]
	v_fma_f64 v[145:146], v[113:114], s[10:11], -v[149:150]
	v_fma_f64 v[177:178], v[113:114], s[20:21], -v[97:98]
	v_add_f64 v[153:154], v[54:55], v[153:154]
	v_mul_f64 v[141:142], v[117:118], s[34:35]
	v_mul_f64 v[117:118], v[117:118], s[24:25]
	v_fma_f64 v[179:180], v[119:120], s[20:21], v[101:102]
	v_add_f64 v[169:170], v[54:55], v[169:170]
	v_fma_f64 v[167:168], v[119:120], s[10:11], v[155:156]
	v_fma_f64 v[60:61], v[113:114], s[10:11], v[149:150]
	v_add_f64 v[62:63], v[54:55], v[159:160]
	v_fma_f64 v[149:150], v[119:120], s[10:11], -v[155:156]
	v_fma_f64 v[97:98], v[113:114], s[20:21], v[97:98]
	v_add_f64 v[54:55], v[54:55], v[91:92]
	v_fma_f64 v[91:92], v[119:120], s[20:21], -v[101:102]
	v_fma_f64 v[113:114], v[111:112], s[0:1], -v[103:104]
	v_mul_f64 v[95:96], v[95:96], s[22:23]
	v_add_f64 v[14:15], v[18:19], v[14:15]
	v_add_f64 v[12:13], v[16:17], v[12:13]
	v_mul_f64 v[101:102], v[129:130], s[28:29]
	v_mul_f64 v[129:130], v[129:130], s[22:23]
	v_add_f64 v[151:152], v[151:152], v[161:162]
	v_mul_f64 v[161:162], v[115:116], s[22:23]
	v_add_f64 v[175:176], v[181:182], v[175:176]
	v_add_f64 v[121:122], v[133:134], v[121:122]
	v_add_f64 v[119:120], v[145:146], v[153:154]
	v_fma_f64 v[153:154], v[111:112], s[8:9], -v[109:110]
	v_fma_f64 v[159:160], v[131:132], s[8:9], v[117:118]
	v_add_f64 v[16:17], v[179:180], v[56:57]
	v_add_f64 v[155:156], v[177:178], v[169:170]
	v_fma_f64 v[145:146], v[131:132], s[0:1], v[141:142]
	v_add_f64 v[18:19], v[167:168], v[58:59]
	v_fma_f64 v[56:57], v[111:112], s[0:1], v[103:104]
	v_add_f64 v[58:59], v[60:61], v[62:63]
	v_fma_f64 v[60:61], v[131:132], s[0:1], -v[141:142]
	v_add_f64 v[62:63], v[149:150], v[66:67]
	v_fma_f64 v[66:67], v[111:112], s[8:9], v[109:110]
	v_add_f64 v[54:55], v[97:98], v[54:55]
	v_fma_f64 v[97:98], v[131:132], s[8:9], -v[117:118]
	v_add_f64 v[52:53], v[91:92], v[52:53]
	v_fma_f64 v[109:110], v[81:82], s[8:9], -v[64:65]
	v_fma_f64 v[117:118], v[81:82], s[10:11], -v[95:96]
	v_add_f64 v[10:11], v[14:15], v[10:11]
	v_add_f64 v[8:9], v[12:13], v[8:9]
	v_mul_f64 v[91:92], v[83:84], s[18:19]
	v_mul_f64 v[103:104], v[115:116], s[18:19]
	;; [unrolled: 1-line block ×3, first 2 shown]
	v_add_f64 v[111:112], v[113:114], v[119:120]
	v_mul_f64 v[115:116], v[115:116], s[16:17]
	v_fma_f64 v[131:132], v[85:86], s[10:11], v[129:130]
	v_add_f64 v[12:13], v[159:160], v[16:17]
	v_add_f64 v[119:120], v[153:154], v[155:156]
	v_fma_f64 v[113:114], v[85:86], s[8:9], v[101:102]
	v_add_f64 v[14:15], v[145:146], v[18:19]
	v_fma_f64 v[16:17], v[81:82], s[8:9], v[64:65]
	v_add_f64 v[18:19], v[56:57], v[58:59]
	v_fma_f64 v[56:57], v[85:86], s[8:9], -v[101:102]
	v_add_f64 v[58:59], v[60:61], v[62:63]
	v_fma_f64 v[60:61], v[81:82], s[10:11], v[95:96]
	v_add_f64 v[54:55], v[66:67], v[54:55]
	v_fma_f64 v[62:63], v[85:86], s[10:11], -v[129:130]
	v_add_f64 v[52:53], v[97:98], v[52:53]
	v_add_f64 v[66:67], v[107:108], v[123:124]
	;; [unrolled: 1-line block ×3, first 2 shown]
	v_fma_f64 v[64:65], v[77:78], s[10:11], -v[137:138]
	v_fma_f64 v[81:82], v[79:80], s[10:11], v[161:162]
	v_fma_f64 v[95:96], v[77:78], s[2:3], -v[91:92]
	v_fma_f64 v[99:100], v[79:80], s[2:3], v[103:104]
	v_fma_f64 v[101:102], v[77:78], s[0:1], -v[83:84]
	v_add_f64 v[97:98], v[109:110], v[111:112]
	v_add_f64 v[111:112], v[10:11], v[6:7]
	v_fma_f64 v[109:110], v[79:80], s[0:1], v[115:116]
	v_fma_f64 v[72:73], v[77:78], s[8:9], v[135:136]
	v_add_f64 v[107:108], v[117:118], v[119:120]
	v_add_f64 v[117:118], v[8:9], v[4:5]
	;; [unrolled: 1-line block ×4, first 2 shown]
	v_fma_f64 v[135:136], v[77:78], s[8:9], -v[135:136]
	v_add_f64 v[127:128], v[192:193], v[127:128]
	v_add_f64 v[175:176], v[183:184], v[175:176]
	v_fma_f64 v[133:134], v[77:78], s[10:11], v[137:138]
	v_add_f64 v[139:140], v[157:158], v[139:140]
	v_fma_f64 v[157:158], v[79:80], s[10:11], -v[161:162]
	v_fma_f64 v[91:92], v[77:78], s[2:3], v[91:92]
	v_add_f64 v[123:124], v[16:17], v[18:19]
	v_fma_f64 v[103:104], v[79:80], s[2:3], -v[103:104]
	v_add_f64 v[129:130], v[56:57], v[58:59]
	v_fma_f64 v[77:78], v[77:78], s[0:1], v[83:84]
	v_add_f64 v[83:84], v[60:61], v[54:55]
	v_fma_f64 v[79:80], v[79:80], s[0:1], -v[115:116]
	v_add_f64 v[115:116], v[62:63], v[52:53]
	v_add_f64 v[58:59], v[95:96], v[97:98]
	;; [unrolled: 1-line block ×23, first 2 shown]
	v_and_b32_e32 v77, 0xffff, v191
	v_lshl_add_u32 v77, v77, 4, v190
	ds_write_b128 v77, v[0:3]
	ds_write_b128 v77, v[60:63] offset:16
	ds_write_b128 v77, v[56:59] offset:32
	;; [unrolled: 1-line block ×10, first 2 shown]
.LBB0_13:
	s_or_b32 exec_lo, exec_lo, s33
	s_waitcnt lgkmcnt(0)
	s_barrier
	buffer_gl0_inv
	ds_read_b128 v[0:3], v88 offset:1056
	ds_read_b128 v[4:7], v88 offset:1760
	;; [unrolled: 1-line block ×5, first 2 shown]
	s_mov_b32 s0, 0xe8584caa
	s_mov_b32 s1, 0xbfebb67a
	;; [unrolled: 1-line block ×4, first 2 shown]
	s_waitcnt lgkmcnt(4)
	v_mul_f64 v[52:53], v[22:23], v[0:1]
	s_waitcnt lgkmcnt(3)
	v_mul_f64 v[54:55], v[38:39], v[4:5]
	;; [unrolled: 2-line block ×3, first 2 shown]
	v_mul_f64 v[22:23], v[22:23], v[2:3]
	v_mul_f64 v[38:39], v[38:39], v[6:7]
	v_fma_f64 v[52:53], v[20:21], v[2:3], -v[52:53]
	v_fma_f64 v[6:7], v[36:37], v[6:7], -v[54:55]
	v_mul_f64 v[2:3], v[26:27], v[10:11]
	s_waitcnt lgkmcnt(1)
	v_mul_f64 v[26:27], v[34:35], v[14:15]
	v_mul_f64 v[34:35], v[34:35], v[12:13]
	s_waitcnt lgkmcnt(0)
	v_mul_f64 v[54:55], v[30:31], v[18:19]
	v_mul_f64 v[30:31], v[30:31], v[16:17]
	v_fma_f64 v[20:21], v[20:21], v[0:1], v[22:23]
	v_fma_f64 v[4:5], v[36:37], v[4:5], v[38:39]
	v_fma_f64 v[10:11], v[24:25], v[10:11], -v[56:57]
	v_add_f64 v[0:1], v[52:53], v[6:7]
	v_fma_f64 v[8:9], v[24:25], v[8:9], v[2:3]
	v_fma_f64 v[12:13], v[32:33], v[12:13], v[26:27]
	v_fma_f64 v[14:15], v[32:33], v[14:15], -v[34:35]
	v_fma_f64 v[16:17], v[28:29], v[16:17], v[54:55]
	v_fma_f64 v[18:19], v[28:29], v[18:19], -v[30:31]
	v_add_f64 v[32:33], v[52:53], -v[6:7]
	v_add_f64 v[22:23], v[20:21], v[4:5]
	v_add_f64 v[24:25], v[20:21], -v[4:5]
	v_fma_f64 v[26:27], v[0:1], -0.5, v[10:11]
	ds_read_b128 v[0:3], v88
	v_add_f64 v[10:11], v[10:11], v[52:53]
	s_waitcnt lgkmcnt(0)
	v_add_f64 v[28:29], v[12:13], v[16:17]
	v_add_f64 v[30:31], v[14:15], v[18:19]
	v_add_f64 v[36:37], v[14:15], -v[18:19]
	v_fma_f64 v[22:23], v[22:23], -0.5, v[8:9]
	v_add_f64 v[8:9], v[8:9], v[20:21]
	s_barrier
	buffer_gl0_inv
	v_add_f64 v[14:15], v[2:3], v[14:15]
	v_fma_f64 v[34:35], v[24:25], s[2:3], v[26:27]
	v_fma_f64 v[24:25], v[24:25], s[0:1], v[26:27]
	v_add_f64 v[26:27], v[0:1], v[12:13]
	v_add_f64 v[12:13], v[12:13], -v[16:17]
	v_fma_f64 v[0:1], v[28:29], -0.5, v[0:1]
	v_fma_f64 v[2:3], v[30:31], -0.5, v[2:3]
	v_add_f64 v[6:7], v[10:11], v[6:7]
	v_fma_f64 v[20:21], v[32:33], s[0:1], v[22:23]
	v_fma_f64 v[22:23], v[32:33], s[2:3], v[22:23]
	v_add_f64 v[4:5], v[8:9], v[4:5]
	v_add_f64 v[14:15], v[14:15], v[18:19]
	v_mul_f64 v[28:29], v[34:35], s[0:1]
	v_mul_f64 v[32:33], v[34:35], 0.5
	v_mul_f64 v[30:31], v[24:25], s[0:1]
	v_mul_f64 v[24:25], v[24:25], -0.5
	v_add_f64 v[16:17], v[26:27], v[16:17]
	v_fma_f64 v[18:19], v[36:37], s[0:1], v[0:1]
	v_fma_f64 v[34:35], v[12:13], s[2:3], v[2:3]
	;; [unrolled: 1-line block ×4, first 2 shown]
	v_add_f64 v[2:3], v[14:15], v[6:7]
	v_fma_f64 v[28:29], v[20:21], 0.5, v[28:29]
	v_fma_f64 v[32:33], v[20:21], s[2:3], v[32:33]
	v_fma_f64 v[30:31], v[22:23], -0.5, v[30:31]
	v_fma_f64 v[22:23], v[22:23], s[2:3], v[24:25]
	v_add_f64 v[0:1], v[16:17], v[4:5]
	v_add_f64 v[4:5], v[16:17], -v[4:5]
	v_add_f64 v[6:7], v[14:15], -v[6:7]
	v_add_f64 v[8:9], v[18:19], v[28:29]
	v_add_f64 v[10:11], v[34:35], v[32:33]
	;; [unrolled: 1-line block ×4, first 2 shown]
	v_add_f64 v[16:17], v[18:19], -v[28:29]
	v_add_f64 v[18:19], v[34:35], -v[32:33]
	v_add_f64 v[20:21], v[26:27], -v[30:31]
	v_add_f64 v[22:23], v[36:37], -v[22:23]
	ds_write_b128 v89, v[0:3]
	ds_write_b128 v89, v[4:7] offset:528
	ds_write_b128 v89, v[8:11] offset:176
	;; [unrolled: 1-line block ×5, first 2 shown]
	s_waitcnt lgkmcnt(0)
	s_barrier
	buffer_gl0_inv
	ds_read_b128 v[0:3], v88 offset:1056
	ds_read_b128 v[4:7], v88 offset:1408
	;; [unrolled: 1-line block ×4, first 2 shown]
	ds_read_b128 v[16:19], v88
	ds_read_b128 v[20:23], v88 offset:352
	s_waitcnt lgkmcnt(5)
	v_mul_f64 v[24:25], v[42:43], v[2:3]
	v_mul_f64 v[26:27], v[42:43], v[0:1]
	s_waitcnt lgkmcnt(4)
	v_mul_f64 v[28:29], v[46:47], v[6:7]
	v_mul_f64 v[30:31], v[46:47], v[4:5]
	;; [unrolled: 3-line block ×3, first 2 shown]
	v_fma_f64 v[0:1], v[40:41], v[0:1], v[24:25]
	v_fma_f64 v[2:3], v[40:41], v[2:3], -v[26:27]
	v_fma_f64 v[4:5], v[44:45], v[4:5], v[28:29]
	v_fma_f64 v[6:7], v[44:45], v[6:7], -v[30:31]
	;; [unrolled: 2-line block ×3, first 2 shown]
	s_waitcnt lgkmcnt(1)
	v_add_f64 v[0:1], v[16:17], -v[0:1]
	v_add_f64 v[2:3], v[18:19], -v[2:3]
	s_waitcnt lgkmcnt(0)
	v_add_f64 v[4:5], v[20:21], -v[4:5]
	v_add_f64 v[6:7], v[22:23], -v[6:7]
	;; [unrolled: 1-line block ×4, first 2 shown]
	v_fma_f64 v[16:17], v[16:17], 2.0, -v[0:1]
	v_fma_f64 v[18:19], v[18:19], 2.0, -v[2:3]
	;; [unrolled: 1-line block ×6, first 2 shown]
	ds_write_b128 v87, v[0:3] offset:1056
	ds_write_b128 v87, v[4:7] offset:1408
	ds_write_b128 v87, v[16:19]
	ds_write_b128 v87, v[20:23] offset:352
	ds_write_b128 v87, v[12:15] offset:704
	;; [unrolled: 1-line block ×3, first 2 shown]
	s_waitcnt lgkmcnt(0)
	s_barrier
	buffer_gl0_inv
	s_and_b32 exec_lo, exec_lo, vcc_lo
	s_cbranch_execz .LBB0_15
; %bb.14:
	s_clause 0xa
	global_load_dwordx4 v[0:3], v189, s[14:15]
	global_load_dwordx4 v[4:7], v189, s[14:15] offset:192
	global_load_dwordx4 v[8:11], v189, s[14:15] offset:384
	;; [unrolled: 1-line block ×10, first 2 shown]
	v_mad_u64_u32 v[44:45], null, s6, v76, 0
	v_mad_u64_u32 v[46:47], null, s4, v188, 0
	;; [unrolled: 1-line block ×4, first 2 shown]
	v_lshl_add_u32 v106, v187, 4, v189
	s_mul_i32 s2, s5, 0xc0
	v_mad_u64_u32 v[48:49], null, s7, v76, v[45:46]
	v_mov_b32_e32 v68, v89
	s_mul_hi_u32 s3, s4, 0xc0
	v_mov_b32_e32 v76, v91
	s_mul_i32 s6, s4, 0xc0
	s_add_i32 s3, s3, s2
	v_mad_u64_u32 v[84:85], null, s5, v186, v[68:69]
	v_mad_u64_u32 v[49:50], null, s5, v188, v[47:48]
	v_mov_b32_e32 v45, v48
	v_mad_u64_u32 v[85:86], null, s5, v185, v[76:77]
	s_mul_i32 s7, s5, 0x180
	v_mov_b32_e32 v89, v84
	v_lshlrev_b64 v[44:45], 4, v[44:45]
	v_mov_b32_e32 v47, v49
	s_mov_b32 s0, 0xf07c1f08
	s_mov_b32 s1, 0x3f7f07c1
	v_mov_b32_e32 v91, v85
	v_lshlrev_b64 v[88:89], 4, v[88:89]
	v_lshlrev_b64 v[46:47], 4, v[46:47]
	v_add_co_u32 v130, vcc_lo, s12, v44
	v_add_co_ci_u32_e32 v131, vcc_lo, s13, v45, vcc_lo
	v_lshlrev_b64 v[90:91], 4, v[90:91]
	v_add_co_u32 v92, vcc_lo, v130, v46
	v_add_co_ci_u32_e32 v93, vcc_lo, v131, v47, vcc_lo
	ds_read_b128 v[44:47], v87
	ds_read_b128 v[48:51], v106 offset:192
	ds_read_b128 v[52:55], v106 offset:384
	;; [unrolled: 1-line block ×10, first 2 shown]
	v_add_co_u32 v94, vcc_lo, v92, s6
	v_add_co_ci_u32_e32 v95, vcc_lo, s3, v93, vcc_lo
	v_add_co_u32 v96, vcc_lo, v94, s6
	v_add_co_ci_u32_e32 v97, vcc_lo, s3, v95, vcc_lo
	;; [unrolled: 2-line block ×3, first 2 shown]
	v_mad_u64_u32 v[100:101], null, 0x180, s4, v[98:99]
	v_add_nc_u32_e32 v101, s7, v101
	v_add_co_u32 v102, vcc_lo, v100, s6
	v_add_co_ci_u32_e32 v103, vcc_lo, s3, v101, vcc_lo
	v_add_co_u32 v104, vcc_lo, v102, s6
	v_add_co_ci_u32_e32 v105, vcc_lo, s3, v103, vcc_lo
	v_mad_u64_u32 v[106:107], null, 0x180, s4, v[104:105]
	v_add_nc_u32_e32 v107, s7, v107
	s_waitcnt vmcnt(10) lgkmcnt(10)
	v_mul_f64 v[108:109], v[46:47], v[2:3]
	v_mul_f64 v[2:3], v[44:45], v[2:3]
	s_waitcnt vmcnt(9) lgkmcnt(9)
	v_mul_f64 v[110:111], v[50:51], v[6:7]
	v_mul_f64 v[6:7], v[48:49], v[6:7]
	;; [unrolled: 3-line block ×11, first 2 shown]
	v_fma_f64 v[44:45], v[44:45], v[0:1], v[108:109]
	v_fma_f64 v[2:3], v[0:1], v[46:47], -v[2:3]
	v_fma_f64 v[46:47], v[48:49], v[4:5], v[110:111]
	v_fma_f64 v[6:7], v[4:5], v[50:51], -v[6:7]
	;; [unrolled: 2-line block ×11, first 2 shown]
	v_mul_f64 v[0:1], v[44:45], s[0:1]
	v_mul_f64 v[2:3], v[2:3], s[0:1]
	;; [unrolled: 1-line block ×22, first 2 shown]
	v_add_co_u32 v44, vcc_lo, v130, v88
	v_add_co_ci_u32_e32 v45, vcc_lo, v131, v89, vcc_lo
	v_add_co_u32 v46, vcc_lo, v130, v90
	v_add_co_ci_u32_e32 v47, vcc_lo, v131, v91, vcc_lo
	v_add_co_u32 v48, vcc_lo, v106, s6
	v_add_co_ci_u32_e32 v49, vcc_lo, s3, v107, vcc_lo
	global_store_dwordx4 v[92:93], v[0:3], off
	global_store_dwordx4 v[94:95], v[4:7], off
	;; [unrolled: 1-line block ×11, first 2 shown]
.LBB0_15:
	s_endpgm
	.section	.rodata,"a",@progbits
	.p2align	6, 0x0
	.amdhsa_kernel bluestein_single_fwd_len132_dim1_dp_op_CI_CI
		.amdhsa_group_segment_fixed_size 10560
		.amdhsa_private_segment_fixed_size 0
		.amdhsa_kernarg_size 104
		.amdhsa_user_sgpr_count 6
		.amdhsa_user_sgpr_private_segment_buffer 1
		.amdhsa_user_sgpr_dispatch_ptr 0
		.amdhsa_user_sgpr_queue_ptr 0
		.amdhsa_user_sgpr_kernarg_segment_ptr 1
		.amdhsa_user_sgpr_dispatch_id 0
		.amdhsa_user_sgpr_flat_scratch_init 0
		.amdhsa_user_sgpr_private_segment_size 0
		.amdhsa_wavefront_size32 1
		.amdhsa_uses_dynamic_stack 0
		.amdhsa_system_sgpr_private_segment_wavefront_offset 0
		.amdhsa_system_sgpr_workgroup_id_x 1
		.amdhsa_system_sgpr_workgroup_id_y 0
		.amdhsa_system_sgpr_workgroup_id_z 0
		.amdhsa_system_sgpr_workgroup_info 0
		.amdhsa_system_vgpr_workitem_id 0
		.amdhsa_next_free_vgpr 219
		.amdhsa_next_free_sgpr 36
		.amdhsa_reserve_vcc 1
		.amdhsa_reserve_flat_scratch 0
		.amdhsa_float_round_mode_32 0
		.amdhsa_float_round_mode_16_64 0
		.amdhsa_float_denorm_mode_32 3
		.amdhsa_float_denorm_mode_16_64 3
		.amdhsa_dx10_clamp 1
		.amdhsa_ieee_mode 1
		.amdhsa_fp16_overflow 0
		.amdhsa_workgroup_processor_mode 1
		.amdhsa_memory_ordered 1
		.amdhsa_forward_progress 0
		.amdhsa_shared_vgpr_count 0
		.amdhsa_exception_fp_ieee_invalid_op 0
		.amdhsa_exception_fp_denorm_src 0
		.amdhsa_exception_fp_ieee_div_zero 0
		.amdhsa_exception_fp_ieee_overflow 0
		.amdhsa_exception_fp_ieee_underflow 0
		.amdhsa_exception_fp_ieee_inexact 0
		.amdhsa_exception_int_div_zero 0
	.end_amdhsa_kernel
	.text
.Lfunc_end0:
	.size	bluestein_single_fwd_len132_dim1_dp_op_CI_CI, .Lfunc_end0-bluestein_single_fwd_len132_dim1_dp_op_CI_CI
                                        ; -- End function
	.section	.AMDGPU.csdata,"",@progbits
; Kernel info:
; codeLenInByte = 11412
; NumSgprs: 38
; NumVgprs: 219
; ScratchSize: 0
; MemoryBound: 0
; FloatMode: 240
; IeeeMode: 1
; LDSByteSize: 10560 bytes/workgroup (compile time only)
; SGPRBlocks: 4
; VGPRBlocks: 27
; NumSGPRsForWavesPerEU: 38
; NumVGPRsForWavesPerEU: 219
; Occupancy: 4
; WaveLimiterHint : 1
; COMPUTE_PGM_RSRC2:SCRATCH_EN: 0
; COMPUTE_PGM_RSRC2:USER_SGPR: 6
; COMPUTE_PGM_RSRC2:TRAP_HANDLER: 0
; COMPUTE_PGM_RSRC2:TGID_X_EN: 1
; COMPUTE_PGM_RSRC2:TGID_Y_EN: 0
; COMPUTE_PGM_RSRC2:TGID_Z_EN: 0
; COMPUTE_PGM_RSRC2:TIDIG_COMP_CNT: 0
	.text
	.p2alignl 6, 3214868480
	.fill 48, 4, 3214868480
	.type	__hip_cuid_2a2853c355e4dbd4,@object ; @__hip_cuid_2a2853c355e4dbd4
	.section	.bss,"aw",@nobits
	.globl	__hip_cuid_2a2853c355e4dbd4
__hip_cuid_2a2853c355e4dbd4:
	.byte	0                               ; 0x0
	.size	__hip_cuid_2a2853c355e4dbd4, 1

	.ident	"AMD clang version 19.0.0git (https://github.com/RadeonOpenCompute/llvm-project roc-6.4.0 25133 c7fe45cf4b819c5991fe208aaa96edf142730f1d)"
	.section	".note.GNU-stack","",@progbits
	.addrsig
	.addrsig_sym __hip_cuid_2a2853c355e4dbd4
	.amdgpu_metadata
---
amdhsa.kernels:
  - .args:
      - .actual_access:  read_only
        .address_space:  global
        .offset:         0
        .size:           8
        .value_kind:     global_buffer
      - .actual_access:  read_only
        .address_space:  global
        .offset:         8
        .size:           8
        .value_kind:     global_buffer
      - .actual_access:  read_only
        .address_space:  global
        .offset:         16
        .size:           8
        .value_kind:     global_buffer
      - .actual_access:  read_only
        .address_space:  global
        .offset:         24
        .size:           8
        .value_kind:     global_buffer
      - .actual_access:  read_only
        .address_space:  global
        .offset:         32
        .size:           8
        .value_kind:     global_buffer
      - .offset:         40
        .size:           8
        .value_kind:     by_value
      - .address_space:  global
        .offset:         48
        .size:           8
        .value_kind:     global_buffer
      - .address_space:  global
        .offset:         56
        .size:           8
        .value_kind:     global_buffer
      - .address_space:  global
        .offset:         64
        .size:           8
        .value_kind:     global_buffer
      - .address_space:  global
        .offset:         72
        .size:           8
        .value_kind:     global_buffer
      - .offset:         80
        .size:           4
        .value_kind:     by_value
      - .address_space:  global
        .offset:         88
        .size:           8
        .value_kind:     global_buffer
      - .address_space:  global
        .offset:         96
        .size:           8
        .value_kind:     global_buffer
    .group_segment_fixed_size: 10560
    .kernarg_segment_align: 8
    .kernarg_segment_size: 104
    .language:       OpenCL C
    .language_version:
      - 2
      - 0
    .max_flat_workgroup_size: 110
    .name:           bluestein_single_fwd_len132_dim1_dp_op_CI_CI
    .private_segment_fixed_size: 0
    .sgpr_count:     38
    .sgpr_spill_count: 0
    .symbol:         bluestein_single_fwd_len132_dim1_dp_op_CI_CI.kd
    .uniform_work_group_size: 1
    .uses_dynamic_stack: false
    .vgpr_count:     219
    .vgpr_spill_count: 0
    .wavefront_size: 32
    .workgroup_processor_mode: 1
amdhsa.target:   amdgcn-amd-amdhsa--gfx1030
amdhsa.version:
  - 1
  - 2
...

	.end_amdgpu_metadata
